;; amdgpu-corpus repo=zjin-lcf/HeCBench kind=compiled arch=gfx1250 opt=O3
	.amdgcn_target "amdgcn-amd-amdhsa--gfx1250"
	.amdhsa_code_object_version 6
	.section	.text._Z19DetectionOverlayBoxI15HIP_vector_typeIfLj3EEEvPKT_PS2_iiiiiiS0_IfLj4EE,"axG",@progbits,_Z19DetectionOverlayBoxI15HIP_vector_typeIfLj3EEEvPKT_PS2_iiiiiiS0_IfLj4EE,comdat
	.protected	_Z19DetectionOverlayBoxI15HIP_vector_typeIfLj3EEEvPKT_PS2_iiiiiiS0_IfLj4EE ; -- Begin function _Z19DetectionOverlayBoxI15HIP_vector_typeIfLj3EEEvPKT_PS2_iiiiiiS0_IfLj4EE
	.globl	_Z19DetectionOverlayBoxI15HIP_vector_typeIfLj3EEEvPKT_PS2_iiiiiiS0_IfLj4EE
	.p2align	8
	.type	_Z19DetectionOverlayBoxI15HIP_vector_typeIfLj3EEEvPKT_PS2_iiiiiiS0_IfLj4EE,@function
_Z19DetectionOverlayBoxI15HIP_vector_typeIfLj3EEEvPKT_PS2_iiiiiiS0_IfLj4EE: ; @_Z19DetectionOverlayBoxI15HIP_vector_typeIfLj3EEEvPKT_PS2_iiiiiiS0_IfLj4EE
; %bb.0:
	s_load_b32 s4, s[0:1], 0x4c
	s_bfe_u32 s6, ttmp6, 0x4000c
	s_bfe_u32 s7, ttmp6, 0x40010
	s_add_co_i32 s6, s6, 1
	s_add_co_i32 s7, s7, 1
	s_clause 0x1
	s_load_b128 s[8:11], s[0:1], 0x10
	s_load_b64 s[2:3], s[0:1], 0x20
	s_and_b32 s5, ttmp6, 15
	s_bfe_u32 s12, ttmp6, 0x40004
	s_mul_i32 s6, ttmp9, s6
	s_mul_i32 s7, ttmp7, s7
	s_getreg_b32 s13, hwreg(HW_REG_IB_STS2, 6, 4)
	v_and_b32_e32 v1, 0x3ff, v0
	v_bfe_u32 v0, v0, 10, 10
	s_add_co_i32 s5, s5, s6
	s_add_co_i32 s12, s12, s7
	s_wait_kmcnt 0x0
	s_lshr_b32 s6, s4, 16
	s_and_b32 s4, s4, 0xffff
	s_cmp_eq_u32 s13, 0
	s_cselect_b32 s5, ttmp9, s5
	s_cselect_b32 s7, ttmp7, s12
	v_mad_u32 v2, s5, s4, v1
	v_mad_u32 v3, s7, s6, v0
	s_delay_alu instid0(VALU_DEP_1) | instskip(SKIP_2) | instid1(VALU_DEP_3)
	v_dual_add_nc_u32 v0, s10, v2 :: v_dual_add_nc_u32 v1, s11, v3
	v_cmp_gt_i32_e32 vcc_lo, s2, v2
	v_cmp_gt_i32_e64 s2, s3, v3
	v_cmp_gt_i32_e64 s3, s8, v0
	s_delay_alu instid0(VALU_DEP_4) | instskip(SKIP_2) | instid1(SALU_CYCLE_1)
	v_cmp_gt_i32_e64 s4, s9, v1
	s_and_b32 s2, vcc_lo, s2
	s_and_b32 s3, s3, s4
	s_and_b32 s2, s2, s3
	s_delay_alu instid0(SALU_CYCLE_1)
	s_and_saveexec_b32 s3, s2
	s_cbranch_execz .LBB0_2
; %bb.1:
	s_load_b128 s[4:7], s[0:1], 0x0
	v_mad_u32 v3, v1, s8, v0
	s_wait_xcnt 0x0
	s_load_b128 s[0:3], s[0:1], 0x30
	s_wait_kmcnt 0x0
	global_load_b96 v[0:2], v3, s[4:5] scale_offset
	s_wait_xcnt 0x0
	s_mov_b32 s4, 0x437f0000
	v_div_scale_f32 v7, vcc_lo, s3, 0x437f0000, s3
	v_div_scale_f32 v4, null, s4, s4, s3
	s_delay_alu instid0(VALU_DEP_1)
	v_rcp_f32_e32 v5, v4
	v_nop
	v_xor_b32_e32 v4, 0x80000000, v4
	s_delay_alu instid0(TRANS32_DEP_1) | instid1(VALU_DEP_1)
	v_fma_f32 v6, v4, v5, 1.0
	s_delay_alu instid0(VALU_DEP_1) | instskip(NEXT) | instid1(VALU_DEP_1)
	v_fmac_f32_e32 v5, v6, v5
	v_mul_f32_e32 v6, v7, v5
	s_delay_alu instid0(VALU_DEP_1) | instskip(NEXT) | instid1(VALU_DEP_1)
	v_fma_f32 v8, v4, v6, v7
	v_fmac_f32_e32 v6, v8, v5
	v_mov_b64_e32 v[8:9], s[0:1]
	s_delay_alu instid0(VALU_DEP_2) | instskip(NEXT) | instid1(VALU_DEP_1)
	v_fmac_f32_e32 v7, v4, v6
	v_div_fmas_f32 v4, v7, v5, v6
	s_delay_alu instid0(VALU_DEP_1) | instskip(NEXT) | instid1(VALU_DEP_1)
	v_div_fixup_f32 v4, v4, 0x437f0000, s3
	v_sub_f32_e32 v6, 1.0, v4
	s_wait_loadcnt 0x0
	s_delay_alu instid0(VALU_DEP_1) | instskip(SKIP_1) | instid1(VALU_DEP_2)
	v_mul_f32_e32 v2, v6, v2
	v_pk_mul_f32 v[0:1], v[6:7], v[0:1] op_sel_hi:[0,1]
	v_fmac_f32_e32 v2, s2, v4
	s_delay_alu instid0(VALU_DEP_2)
	v_pk_fma_f32 v[0:1], v[8:9], v[4:5], v[0:1] op_sel_hi:[1,0,1]
	global_store_b96 v3, v[0:2], s[6:7] scale_offset
.LBB0_2:
	s_endpgm
	.section	.rodata,"a",@progbits
	.p2align	6, 0x0
	.amdhsa_kernel _Z19DetectionOverlayBoxI15HIP_vector_typeIfLj3EEEvPKT_PS2_iiiiiiS0_IfLj4EE
		.amdhsa_group_segment_fixed_size 0
		.amdhsa_private_segment_fixed_size 0
		.amdhsa_kernarg_size 320
		.amdhsa_user_sgpr_count 2
		.amdhsa_user_sgpr_dispatch_ptr 0
		.amdhsa_user_sgpr_queue_ptr 0
		.amdhsa_user_sgpr_kernarg_segment_ptr 1
		.amdhsa_user_sgpr_dispatch_id 0
		.amdhsa_user_sgpr_kernarg_preload_length 0
		.amdhsa_user_sgpr_kernarg_preload_offset 0
		.amdhsa_user_sgpr_private_segment_size 0
		.amdhsa_wavefront_size32 1
		.amdhsa_uses_dynamic_stack 0
		.amdhsa_enable_private_segment 0
		.amdhsa_system_sgpr_workgroup_id_x 1
		.amdhsa_system_sgpr_workgroup_id_y 1
		.amdhsa_system_sgpr_workgroup_id_z 0
		.amdhsa_system_sgpr_workgroup_info 0
		.amdhsa_system_vgpr_workitem_id 1
		.amdhsa_next_free_vgpr 10
		.amdhsa_next_free_sgpr 14
		.amdhsa_named_barrier_count 0
		.amdhsa_reserve_vcc 1
		.amdhsa_float_round_mode_32 0
		.amdhsa_float_round_mode_16_64 0
		.amdhsa_float_denorm_mode_32 3
		.amdhsa_float_denorm_mode_16_64 3
		.amdhsa_fp16_overflow 0
		.amdhsa_memory_ordered 1
		.amdhsa_forward_progress 1
		.amdhsa_inst_pref_size 4
		.amdhsa_round_robin_scheduling 0
		.amdhsa_exception_fp_ieee_invalid_op 0
		.amdhsa_exception_fp_denorm_src 0
		.amdhsa_exception_fp_ieee_div_zero 0
		.amdhsa_exception_fp_ieee_overflow 0
		.amdhsa_exception_fp_ieee_underflow 0
		.amdhsa_exception_fp_ieee_inexact 0
		.amdhsa_exception_int_div_zero 0
	.end_amdhsa_kernel
	.section	.text._Z19DetectionOverlayBoxI15HIP_vector_typeIfLj3EEEvPKT_PS2_iiiiiiS0_IfLj4EE,"axG",@progbits,_Z19DetectionOverlayBoxI15HIP_vector_typeIfLj3EEEvPKT_PS2_iiiiiiS0_IfLj4EE,comdat
.Lfunc_end0:
	.size	_Z19DetectionOverlayBoxI15HIP_vector_typeIfLj3EEEvPKT_PS2_iiiiiiS0_IfLj4EE, .Lfunc_end0-_Z19DetectionOverlayBoxI15HIP_vector_typeIfLj3EEEvPKT_PS2_iiiiiiS0_IfLj4EE
                                        ; -- End function
	.set _Z19DetectionOverlayBoxI15HIP_vector_typeIfLj3EEEvPKT_PS2_iiiiiiS0_IfLj4EE.num_vgpr, 10
	.set _Z19DetectionOverlayBoxI15HIP_vector_typeIfLj3EEEvPKT_PS2_iiiiiiS0_IfLj4EE.num_agpr, 0
	.set _Z19DetectionOverlayBoxI15HIP_vector_typeIfLj3EEEvPKT_PS2_iiiiiiS0_IfLj4EE.numbered_sgpr, 14
	.set _Z19DetectionOverlayBoxI15HIP_vector_typeIfLj3EEEvPKT_PS2_iiiiiiS0_IfLj4EE.num_named_barrier, 0
	.set _Z19DetectionOverlayBoxI15HIP_vector_typeIfLj3EEEvPKT_PS2_iiiiiiS0_IfLj4EE.private_seg_size, 0
	.set _Z19DetectionOverlayBoxI15HIP_vector_typeIfLj3EEEvPKT_PS2_iiiiiiS0_IfLj4EE.uses_vcc, 1
	.set _Z19DetectionOverlayBoxI15HIP_vector_typeIfLj3EEEvPKT_PS2_iiiiiiS0_IfLj4EE.uses_flat_scratch, 0
	.set _Z19DetectionOverlayBoxI15HIP_vector_typeIfLj3EEEvPKT_PS2_iiiiiiS0_IfLj4EE.has_dyn_sized_stack, 0
	.set _Z19DetectionOverlayBoxI15HIP_vector_typeIfLj3EEEvPKT_PS2_iiiiiiS0_IfLj4EE.has_recursion, 0
	.set _Z19DetectionOverlayBoxI15HIP_vector_typeIfLj3EEEvPKT_PS2_iiiiiiS0_IfLj4EE.has_indirect_call, 0
	.section	.AMDGPU.csdata,"",@progbits
; Kernel info:
; codeLenInByte = 444
; TotalNumSgprs: 16
; NumVgprs: 10
; ScratchSize: 0
; MemoryBound: 0
; FloatMode: 240
; IeeeMode: 1
; LDSByteSize: 0 bytes/workgroup (compile time only)
; SGPRBlocks: 0
; VGPRBlocks: 0
; NumSGPRsForWavesPerEU: 16
; NumVGPRsForWavesPerEU: 10
; NamedBarCnt: 0
; Occupancy: 16
; WaveLimiterHint : 0
; COMPUTE_PGM_RSRC2:SCRATCH_EN: 0
; COMPUTE_PGM_RSRC2:USER_SGPR: 2
; COMPUTE_PGM_RSRC2:TRAP_HANDLER: 0
; COMPUTE_PGM_RSRC2:TGID_X_EN: 1
; COMPUTE_PGM_RSRC2:TGID_Y_EN: 1
; COMPUTE_PGM_RSRC2:TGID_Z_EN: 0
; COMPUTE_PGM_RSRC2:TIDIG_COMP_CNT: 1
	.section	.AMDGPU.gpr_maximums,"",@progbits
	.set amdgpu.max_num_vgpr, 0
	.set amdgpu.max_num_agpr, 0
	.set amdgpu.max_num_sgpr, 0
	.section	.AMDGPU.csdata,"",@progbits
	.type	__hip_cuid_a9b17cf334473e88,@object ; @__hip_cuid_a9b17cf334473e88
	.section	.bss,"aw",@nobits
	.globl	__hip_cuid_a9b17cf334473e88
__hip_cuid_a9b17cf334473e88:
	.byte	0                               ; 0x0
	.size	__hip_cuid_a9b17cf334473e88, 1

	.ident	"AMD clang version 22.0.0git (https://github.com/RadeonOpenCompute/llvm-project roc-7.2.4 26084 f58b06dce1f9c15707c5f808fd002e18c2accf7e)"
	.section	".note.GNU-stack","",@progbits
	.addrsig
	.addrsig_sym __hip_cuid_a9b17cf334473e88
	.amdgpu_metadata
---
amdhsa.kernels:
  - .args:
      - .actual_access:  read_only
        .address_space:  global
        .offset:         0
        .size:           8
        .value_kind:     global_buffer
      - .actual_access:  write_only
        .address_space:  global
        .offset:         8
        .size:           8
        .value_kind:     global_buffer
      - .offset:         16
        .size:           4
        .value_kind:     by_value
      - .offset:         20
        .size:           4
        .value_kind:     by_value
      - .offset:         24
        .size:           4
        .value_kind:     by_value
      - .offset:         28
        .size:           4
        .value_kind:     by_value
      - .offset:         32
        .size:           4
        .value_kind:     by_value
      - .offset:         36
        .size:           4
        .value_kind:     by_value
      - .offset:         48
        .size:           16
        .value_kind:     by_value
      - .offset:         64
        .size:           4
        .value_kind:     hidden_block_count_x
      - .offset:         68
        .size:           4
        .value_kind:     hidden_block_count_y
      - .offset:         72
        .size:           4
        .value_kind:     hidden_block_count_z
      - .offset:         76
        .size:           2
        .value_kind:     hidden_group_size_x
      - .offset:         78
        .size:           2
        .value_kind:     hidden_group_size_y
      - .offset:         80
        .size:           2
        .value_kind:     hidden_group_size_z
      - .offset:         82
        .size:           2
        .value_kind:     hidden_remainder_x
      - .offset:         84
        .size:           2
        .value_kind:     hidden_remainder_y
      - .offset:         86
        .size:           2
        .value_kind:     hidden_remainder_z
      - .offset:         104
        .size:           8
        .value_kind:     hidden_global_offset_x
      - .offset:         112
        .size:           8
        .value_kind:     hidden_global_offset_y
      - .offset:         120
        .size:           8
        .value_kind:     hidden_global_offset_z
      - .offset:         128
        .size:           2
        .value_kind:     hidden_grid_dims
    .group_segment_fixed_size: 0
    .kernarg_segment_align: 16
    .kernarg_segment_size: 320
    .language:       OpenCL C
    .language_version:
      - 2
      - 0
    .max_flat_workgroup_size: 1024
    .name:           _Z19DetectionOverlayBoxI15HIP_vector_typeIfLj3EEEvPKT_PS2_iiiiiiS0_IfLj4EE
    .private_segment_fixed_size: 0
    .sgpr_count:     16
    .sgpr_spill_count: 0
    .symbol:         _Z19DetectionOverlayBoxI15HIP_vector_typeIfLj3EEEvPKT_PS2_iiiiiiS0_IfLj4EE.kd
    .uniform_work_group_size: 1
    .uses_dynamic_stack: false
    .vgpr_count:     10
    .vgpr_spill_count: 0
    .wavefront_size: 32
amdhsa.target:   amdgcn-amd-amdhsa--gfx1250
amdhsa.version:
  - 1
  - 2
...

	.end_amdgpu_metadata
